;; amdgpu-corpus repo=ROCm/rocFFT kind=compiled arch=gfx906 opt=O3
	.text
	.amdgcn_target "amdgcn-amd-amdhsa--gfx906"
	.amdhsa_code_object_version 6
	.protected	fft_rtc_fwd_len1980_factors_11_2_3_3_5_2_wgs_198_tpt_198_halfLds_sp_ip_CI_unitstride_sbrr_dirReg ; -- Begin function fft_rtc_fwd_len1980_factors_11_2_3_3_5_2_wgs_198_tpt_198_halfLds_sp_ip_CI_unitstride_sbrr_dirReg
	.globl	fft_rtc_fwd_len1980_factors_11_2_3_3_5_2_wgs_198_tpt_198_halfLds_sp_ip_CI_unitstride_sbrr_dirReg
	.p2align	8
	.type	fft_rtc_fwd_len1980_factors_11_2_3_3_5_2_wgs_198_tpt_198_halfLds_sp_ip_CI_unitstride_sbrr_dirReg,@function
fft_rtc_fwd_len1980_factors_11_2_3_3_5_2_wgs_198_tpt_198_halfLds_sp_ip_CI_unitstride_sbrr_dirReg: ; @fft_rtc_fwd_len1980_factors_11_2_3_3_5_2_wgs_198_tpt_198_halfLds_sp_ip_CI_unitstride_sbrr_dirReg
; %bb.0:
	s_load_dwordx2 s[12:13], s[4:5], 0x50
	s_load_dwordx4 s[8:11], s[4:5], 0x0
	s_load_dwordx2 s[2:3], s[4:5], 0x18
	v_mul_u32_u24_e32 v1, 0x14b, v0
	v_add_u32_sdwa v5, s6, v1 dst_sel:DWORD dst_unused:UNUSED_PAD src0_sel:DWORD src1_sel:WORD_1
	v_mov_b32_e32 v3, 0
	s_waitcnt lgkmcnt(0)
	v_cmp_lt_u64_e64 s[0:1], s[10:11], 2
	v_mov_b32_e32 v1, 0
	v_mov_b32_e32 v6, v3
	s_and_b64 vcc, exec, s[0:1]
	v_mov_b32_e32 v2, 0
	s_cbranch_vccnz .LBB0_8
; %bb.1:
	s_load_dwordx2 s[0:1], s[4:5], 0x10
	s_add_u32 s6, s2, 8
	s_addc_u32 s7, s3, 0
	v_mov_b32_e32 v1, 0
	v_mov_b32_e32 v2, 0
	s_waitcnt lgkmcnt(0)
	s_add_u32 s14, s0, 8
	s_addc_u32 s15, s1, 0
	s_mov_b64 s[16:17], 1
.LBB0_2:                                ; =>This Inner Loop Header: Depth=1
	s_load_dwordx2 s[18:19], s[14:15], 0x0
                                        ; implicit-def: $vgpr7_vgpr8
	s_waitcnt lgkmcnt(0)
	v_or_b32_e32 v4, s19, v6
	v_cmp_ne_u64_e32 vcc, 0, v[3:4]
	s_and_saveexec_b64 s[0:1], vcc
	s_xor_b64 s[20:21], exec, s[0:1]
	s_cbranch_execz .LBB0_4
; %bb.3:                                ;   in Loop: Header=BB0_2 Depth=1
	v_cvt_f32_u32_e32 v4, s18
	v_cvt_f32_u32_e32 v7, s19
	s_sub_u32 s0, 0, s18
	s_subb_u32 s1, 0, s19
	v_mac_f32_e32 v4, 0x4f800000, v7
	v_rcp_f32_e32 v4, v4
	v_mul_f32_e32 v4, 0x5f7ffffc, v4
	v_mul_f32_e32 v7, 0x2f800000, v4
	v_trunc_f32_e32 v7, v7
	v_mac_f32_e32 v4, 0xcf800000, v7
	v_cvt_u32_f32_e32 v7, v7
	v_cvt_u32_f32_e32 v4, v4
	v_mul_lo_u32 v8, s0, v7
	v_mul_hi_u32 v9, s0, v4
	v_mul_lo_u32 v11, s1, v4
	v_mul_lo_u32 v10, s0, v4
	v_add_u32_e32 v8, v9, v8
	v_add_u32_e32 v8, v8, v11
	v_mul_hi_u32 v9, v4, v10
	v_mul_lo_u32 v11, v4, v8
	v_mul_hi_u32 v13, v4, v8
	v_mul_hi_u32 v12, v7, v10
	v_mul_lo_u32 v10, v7, v10
	v_mul_hi_u32 v14, v7, v8
	v_add_co_u32_e32 v9, vcc, v9, v11
	v_addc_co_u32_e32 v11, vcc, 0, v13, vcc
	v_mul_lo_u32 v8, v7, v8
	v_add_co_u32_e32 v9, vcc, v9, v10
	v_addc_co_u32_e32 v9, vcc, v11, v12, vcc
	v_addc_co_u32_e32 v10, vcc, 0, v14, vcc
	v_add_co_u32_e32 v8, vcc, v9, v8
	v_addc_co_u32_e32 v9, vcc, 0, v10, vcc
	v_add_co_u32_e32 v4, vcc, v4, v8
	v_addc_co_u32_e32 v7, vcc, v7, v9, vcc
	v_mul_lo_u32 v8, s0, v7
	v_mul_hi_u32 v9, s0, v4
	v_mul_lo_u32 v10, s1, v4
	v_mul_lo_u32 v11, s0, v4
	v_add_u32_e32 v8, v9, v8
	v_add_u32_e32 v8, v8, v10
	v_mul_lo_u32 v12, v4, v8
	v_mul_hi_u32 v13, v4, v11
	v_mul_hi_u32 v14, v4, v8
	;; [unrolled: 1-line block ×3, first 2 shown]
	v_mul_lo_u32 v11, v7, v11
	v_mul_hi_u32 v9, v7, v8
	v_add_co_u32_e32 v12, vcc, v13, v12
	v_addc_co_u32_e32 v13, vcc, 0, v14, vcc
	v_mul_lo_u32 v8, v7, v8
	v_add_co_u32_e32 v11, vcc, v12, v11
	v_addc_co_u32_e32 v10, vcc, v13, v10, vcc
	v_addc_co_u32_e32 v9, vcc, 0, v9, vcc
	v_add_co_u32_e32 v8, vcc, v10, v8
	v_addc_co_u32_e32 v9, vcc, 0, v9, vcc
	v_add_co_u32_e32 v4, vcc, v4, v8
	v_addc_co_u32_e32 v9, vcc, v7, v9, vcc
	v_mad_u64_u32 v[7:8], s[0:1], v5, v9, 0
	v_mul_hi_u32 v10, v5, v4
	v_add_co_u32_e32 v11, vcc, v10, v7
	v_addc_co_u32_e32 v12, vcc, 0, v8, vcc
	v_mad_u64_u32 v[7:8], s[0:1], v6, v4, 0
	v_mad_u64_u32 v[9:10], s[0:1], v6, v9, 0
	v_add_co_u32_e32 v4, vcc, v11, v7
	v_addc_co_u32_e32 v4, vcc, v12, v8, vcc
	v_addc_co_u32_e32 v7, vcc, 0, v10, vcc
	v_add_co_u32_e32 v4, vcc, v4, v9
	v_addc_co_u32_e32 v9, vcc, 0, v7, vcc
	v_mul_lo_u32 v10, s19, v4
	v_mul_lo_u32 v11, s18, v9
	v_mad_u64_u32 v[7:8], s[0:1], s18, v4, 0
	v_add3_u32 v8, v8, v11, v10
	v_sub_u32_e32 v10, v6, v8
	v_mov_b32_e32 v11, s19
	v_sub_co_u32_e32 v7, vcc, v5, v7
	v_subb_co_u32_e64 v10, s[0:1], v10, v11, vcc
	v_subrev_co_u32_e64 v11, s[0:1], s18, v7
	v_subbrev_co_u32_e64 v10, s[0:1], 0, v10, s[0:1]
	v_cmp_le_u32_e64 s[0:1], s19, v10
	v_cndmask_b32_e64 v12, 0, -1, s[0:1]
	v_cmp_le_u32_e64 s[0:1], s18, v11
	v_cndmask_b32_e64 v11, 0, -1, s[0:1]
	v_cmp_eq_u32_e64 s[0:1], s19, v10
	v_cndmask_b32_e64 v10, v12, v11, s[0:1]
	v_add_co_u32_e64 v11, s[0:1], 2, v4
	v_addc_co_u32_e64 v12, s[0:1], 0, v9, s[0:1]
	v_add_co_u32_e64 v13, s[0:1], 1, v4
	v_addc_co_u32_e64 v14, s[0:1], 0, v9, s[0:1]
	v_subb_co_u32_e32 v8, vcc, v6, v8, vcc
	v_cmp_ne_u32_e64 s[0:1], 0, v10
	v_cmp_le_u32_e32 vcc, s19, v8
	v_cndmask_b32_e64 v10, v14, v12, s[0:1]
	v_cndmask_b32_e64 v12, 0, -1, vcc
	v_cmp_le_u32_e32 vcc, s18, v7
	v_cndmask_b32_e64 v7, 0, -1, vcc
	v_cmp_eq_u32_e32 vcc, s19, v8
	v_cndmask_b32_e32 v7, v12, v7, vcc
	v_cmp_ne_u32_e32 vcc, 0, v7
	v_cndmask_b32_e64 v7, v13, v11, s[0:1]
	v_cndmask_b32_e32 v8, v9, v10, vcc
	v_cndmask_b32_e32 v7, v4, v7, vcc
.LBB0_4:                                ;   in Loop: Header=BB0_2 Depth=1
	s_andn2_saveexec_b64 s[0:1], s[20:21]
	s_cbranch_execz .LBB0_6
; %bb.5:                                ;   in Loop: Header=BB0_2 Depth=1
	v_cvt_f32_u32_e32 v4, s18
	s_sub_i32 s20, 0, s18
	v_rcp_iflag_f32_e32 v4, v4
	v_mul_f32_e32 v4, 0x4f7ffffe, v4
	v_cvt_u32_f32_e32 v4, v4
	v_mul_lo_u32 v7, s20, v4
	v_mul_hi_u32 v7, v4, v7
	v_add_u32_e32 v4, v4, v7
	v_mul_hi_u32 v4, v5, v4
	v_mul_lo_u32 v7, v4, s18
	v_add_u32_e32 v8, 1, v4
	v_sub_u32_e32 v7, v5, v7
	v_subrev_u32_e32 v9, s18, v7
	v_cmp_le_u32_e32 vcc, s18, v7
	v_cndmask_b32_e32 v7, v7, v9, vcc
	v_cndmask_b32_e32 v4, v4, v8, vcc
	v_add_u32_e32 v8, 1, v4
	v_cmp_le_u32_e32 vcc, s18, v7
	v_cndmask_b32_e32 v7, v4, v8, vcc
	v_mov_b32_e32 v8, v3
.LBB0_6:                                ;   in Loop: Header=BB0_2 Depth=1
	s_or_b64 exec, exec, s[0:1]
	v_mul_lo_u32 v4, v8, s18
	v_mul_lo_u32 v11, v7, s19
	v_mad_u64_u32 v[9:10], s[0:1], v7, s18, 0
	s_load_dwordx2 s[0:1], s[6:7], 0x0
	s_add_u32 s16, s16, 1
	v_add3_u32 v4, v10, v11, v4
	v_sub_co_u32_e32 v5, vcc, v5, v9
	v_subb_co_u32_e32 v4, vcc, v6, v4, vcc
	s_waitcnt lgkmcnt(0)
	v_mul_lo_u32 v4, s0, v4
	v_mul_lo_u32 v6, s1, v5
	v_mad_u64_u32 v[1:2], s[0:1], s0, v5, v[1:2]
	s_addc_u32 s17, s17, 0
	s_add_u32 s6, s6, 8
	v_add3_u32 v2, v6, v2, v4
	v_mov_b32_e32 v4, s10
	v_mov_b32_e32 v5, s11
	s_addc_u32 s7, s7, 0
	v_cmp_ge_u64_e32 vcc, s[16:17], v[4:5]
	s_add_u32 s14, s14, 8
	s_addc_u32 s15, s15, 0
	s_cbranch_vccnz .LBB0_9
; %bb.7:                                ;   in Loop: Header=BB0_2 Depth=1
	v_mov_b32_e32 v5, v7
	v_mov_b32_e32 v6, v8
	s_branch .LBB0_2
.LBB0_8:
	v_mov_b32_e32 v8, v6
	v_mov_b32_e32 v7, v5
.LBB0_9:
	s_lshl_b64 s[0:1], s[10:11], 3
	s_add_u32 s0, s2, s0
	s_addc_u32 s1, s3, s1
	s_load_dwordx2 s[2:3], s[0:1], 0x0
	s_load_dwordx2 s[6:7], s[4:5], 0x20
                                        ; implicit-def: $vgpr10
                                        ; implicit-def: $vgpr17
                                        ; implicit-def: $vgpr19
                                        ; implicit-def: $vgpr21
                                        ; implicit-def: $vgpr23
                                        ; implicit-def: $vgpr29
                                        ; implicit-def: $vgpr27
                                        ; implicit-def: $vgpr25
	s_waitcnt lgkmcnt(0)
	v_mad_u64_u32 v[5:6], s[0:1], s2, v7, v[1:2]
	s_mov_b32 s0, 0x14afd6b
	v_mul_hi_u32 v1, v0, s0
	v_mul_lo_u32 v3, s2, v8
	v_mul_lo_u32 v4, s3, v7
	v_cmp_gt_u64_e64 s[0:1], s[6:7], v[7:8]
	v_mul_u32_u24_e32 v1, 0xc6, v1
	v_sub_u32_e32 v2, v0, v1
	v_add3_u32 v6, v4, v6, v3
	s_movk_i32 s2, 0xb4
	v_cmp_gt_u32_e64 s[2:3], s2, v2
	v_lshlrev_b64 v[0:1], 3, v[5:6]
	s_and_b64 s[6:7], s[0:1], s[2:3]
	v_mov_b32_e32 v4, 0
	v_mov_b32_e32 v3, 0
                                        ; implicit-def: $vgpr6
                                        ; implicit-def: $vgpr8
	s_and_saveexec_b64 s[4:5], s[6:7]
	s_cbranch_execz .LBB0_11
; %bb.10:
	v_mov_b32_e32 v3, 0
	v_mov_b32_e32 v4, s13
	v_add_co_u32_e32 v5, vcc, s12, v0
	v_addc_co_u32_e32 v6, vcc, v4, v1, vcc
	v_lshlrev_b64 v[3:4], 3, v[2:3]
	s_movk_i32 s6, 0x1000
	v_add_co_u32_e32 v11, vcc, v5, v3
	v_addc_co_u32_e32 v12, vcc, v6, v4, vcc
	v_add_co_u32_e32 v13, vcc, s6, v11
	v_addc_co_u32_e32 v14, vcc, 0, v12, vcc
	s_movk_i32 s6, 0x2000
	v_add_co_u32_e32 v30, vcc, s6, v11
	v_addc_co_u32_e32 v31, vcc, 0, v12, vcc
	global_load_dwordx2 v[3:4], v[11:12], off
	global_load_dwordx2 v[5:6], v[11:12], off offset:1440
	global_load_dwordx2 v[7:8], v[11:12], off offset:2880
	;; [unrolled: 1-line block ×3, first 2 shown]
	v_add_co_u32_e32 v11, vcc, 0x3000, v11
	v_addc_co_u32_e32 v12, vcc, 0, v12, vcc
	global_load_dwordx2 v[16:17], v[13:14], off offset:1664
	global_load_dwordx2 v[18:19], v[13:14], off offset:3104
	;; [unrolled: 1-line block ×7, first 2 shown]
.LBB0_11:
	s_or_b64 exec, exec, s[4:5]
	s_waitcnt vmcnt(0)
	v_add_f32_e32 v33, v5, v28
	v_mul_f32_e32 v12, 0x3f575c64, v33
	v_sub_f32_e32 v11, v6, v29
	v_mov_b32_e32 v13, v12
	v_add_f32_e32 v36, v7, v26
	v_fmac_f32_e32 v13, 0xbf0a6770, v11
	v_mul_f32_e32 v14, 0x3ed4b147, v36
	v_add_f32_e32 v15, v3, v13
	v_sub_f32_e32 v13, v8, v27
	v_mov_b32_e32 v30, v14
	v_fmac_f32_e32 v30, 0xbf68dda4, v13
	v_add_f32_e32 v37, v9, v22
	v_add_f32_e32 v31, v15, v30
	v_mul_f32_e32 v30, 0xbe11bafb, v37
	v_sub_f32_e32 v15, v10, v23
	v_mov_b32_e32 v32, v30
	v_fmac_f32_e32 v32, 0xbf7d64f0, v15
	v_add_f32_e32 v38, v16, v24
	v_add_f32_e32 v34, v32, v31
	v_mul_f32_e32 v32, 0xbf27a4f4, v38
	;; [unrolled: 6-line block ×3, first 2 shown]
	v_sub_f32_e32 v34, v19, v21
	v_mov_b32_e32 v41, v35
	v_fmac_f32_e32 v41, 0xbe903f40, v34
	v_add_f32_e32 v45, v41, v40
	s_mov_b32 s14, 0x3f575c64
	s_mov_b32 s11, 0x3ed4b147
	s_mov_b32 s10, 0xbe11bafb
	s_mov_b32 s7, 0xbf27a4f4
	s_mov_b32 s6, 0xbf75a155
	s_and_saveexec_b64 s[4:5], s[2:3]
	s_cbranch_execz .LBB0_13
; %bb.12:
	v_mul_f32_e32 v40, 0xbe903f40, v11
	v_mov_b32_e32 v41, v40
	v_mul_f32_e32 v42, 0x3f0a6770, v13
	v_fmac_f32_e32 v41, 0xbf75a155, v33
	v_mov_b32_e32 v43, v42
	v_add_f32_e32 v41, v3, v41
	v_fmac_f32_e32 v43, 0x3f575c64, v36
	v_add_f32_e32 v41, v41, v43
	v_mul_f32_e32 v43, 0xbf4178ce, v15
	v_mov_b32_e32 v44, v43
	v_fmac_f32_e32 v44, 0xbf27a4f4, v37
	v_add_f32_e32 v41, v44, v41
	v_mul_f32_e32 v44, 0x3f68dda4, v31
	v_fma_f32 v40, v33, s6, -v40
	v_fma_f32 v46, v38, s11, -v44
	v_fmac_f32_e32 v44, 0x3ed4b147, v38
	v_add_f32_e32 v40, v3, v40
	v_fma_f32 v42, v36, s14, -v42
	v_add_f32_e32 v41, v41, v44
	v_mul_f32_e32 v44, 0xbf7d64f0, v34
	v_add_f32_e32 v40, v40, v42
	v_fma_f32 v42, v37, s7, -v43
	v_fma_f32 v47, v39, s10, -v44
	v_fmac_f32_e32 v44, 0xbe11bafb, v39
	v_add_f32_e32 v40, v42, v40
	v_mul_f32_e32 v42, 0xbf4178ce, v11
	v_add_f32_e32 v41, v44, v41
	v_mov_b32_e32 v43, v42
	v_mul_f32_e32 v44, 0x3f7d64f0, v13
	v_add_f32_e32 v40, v40, v46
	v_fmac_f32_e32 v43, 0xbf27a4f4, v33
	v_mov_b32_e32 v46, v44
	v_add_f32_e32 v43, v3, v43
	v_fmac_f32_e32 v46, 0xbe11bafb, v36
	v_add_f32_e32 v43, v43, v46
	v_mul_f32_e32 v46, 0xbf0a6770, v15
	v_add_f32_e32 v40, v47, v40
	v_mov_b32_e32 v47, v46
	v_fmac_f32_e32 v47, 0x3f575c64, v37
	v_add_f32_e32 v43, v47, v43
	v_mul_f32_e32 v47, 0xbe903f40, v31
	v_fma_f32 v42, v33, s7, -v42
	v_fma_f32 v48, v38, s6, -v47
	v_fmac_f32_e32 v47, 0xbf75a155, v38
	v_add_f32_e32 v42, v3, v42
	v_fma_f32 v44, v36, s10, -v44
	v_add_f32_e32 v43, v43, v47
	v_mul_f32_e32 v47, 0x3f68dda4, v34
	v_add_f32_e32 v42, v42, v44
	v_fma_f32 v44, v37, s14, -v46
	v_fma_f32 v49, v39, s11, -v47
	v_fmac_f32_e32 v47, 0x3ed4b147, v39
	v_add_f32_e32 v42, v44, v42
	v_mul_f32_e32 v44, 0xbf7d64f0, v11
	v_add_f32_e32 v43, v47, v43
	v_mov_b32_e32 v46, v44
	v_mul_f32_e32 v47, 0x3e903f40, v13
	v_add_f32_e32 v42, v42, v48
	v_fmac_f32_e32 v46, 0xbe11bafb, v33
	v_mov_b32_e32 v48, v47
	v_add_f32_e32 v46, v3, v46
	v_fmac_f32_e32 v48, 0xbf75a155, v36
	v_add_f32_e32 v46, v46, v48
	v_mul_f32_e32 v48, 0x3f68dda4, v15
	v_add_f32_e32 v42, v49, v42
	v_mov_b32_e32 v49, v48
	v_fmac_f32_e32 v49, 0x3ed4b147, v37
	v_add_f32_e32 v46, v49, v46
	v_mul_f32_e32 v49, 0xbf0a6770, v31
	v_fma_f32 v44, v33, s10, -v44
	v_fma_f32 v50, v38, s14, -v49
	v_fmac_f32_e32 v49, 0x3f575c64, v38
	v_add_f32_e32 v44, v3, v44
	v_fma_f32 v47, v36, s6, -v47
	v_add_f32_e32 v46, v46, v49
	v_mul_f32_e32 v49, 0xbf4178ce, v34
	v_add_f32_e32 v44, v44, v47
	v_fma_f32 v47, v37, s11, -v48
	v_fma_f32 v51, v39, s7, -v49
	v_fmac_f32_e32 v49, 0xbf27a4f4, v39
	v_add_f32_e32 v44, v47, v44
	v_mul_f32_e32 v47, 0xbf68dda4, v11
	v_add_f32_e32 v46, v49, v46
	v_mov_b32_e32 v48, v47
	v_mul_f32_e32 v49, 0xbf4178ce, v13
	v_mul_f32_e32 v11, 0xbf0a6770, v11
	v_add_f32_e32 v44, v44, v50
	v_fmac_f32_e32 v48, 0x3ed4b147, v33
	v_mov_b32_e32 v50, v49
	v_fma_f32 v33, v33, s11, -v47
	v_sub_f32_e32 v11, v12, v11
	v_add_f32_e32 v48, v3, v48
	v_fmac_f32_e32 v50, 0xbf27a4f4, v36
	v_add_f32_e32 v33, v3, v33
	v_add_f32_e32 v11, v3, v11
	;; [unrolled: 1-line block ×4, first 2 shown]
	v_mul_f32_e32 v50, 0x3e903f40, v15
	v_add_f32_e32 v3, v3, v7
	v_add_f32_e32 v44, v51, v44
	v_mov_b32_e32 v51, v50
	v_mul_f32_e32 v12, 0xbf68dda4, v13
	v_add_f32_e32 v3, v3, v9
	v_fmac_f32_e32 v51, 0xbf75a155, v37
	v_sub_f32_e32 v12, v14, v12
	v_add_f32_e32 v3, v3, v16
	v_add_f32_e32 v48, v51, v48
	v_mul_f32_e32 v51, 0x3f7d64f0, v31
	v_add_f32_e32 v11, v11, v12
	v_mul_f32_e32 v12, 0xbf7d64f0, v15
	v_add_f32_e32 v3, v3, v18
	v_mov_b32_e32 v52, v51
	v_sub_f32_e32 v12, v30, v12
	v_add_f32_e32 v3, v3, v20
	v_fmac_f32_e32 v52, 0xbe11bafb, v38
	v_fma_f32 v36, v36, s7, -v49
	v_add_f32_e32 v11, v12, v11
	v_mul_f32_e32 v12, 0xbf4178ce, v31
	v_add_f32_e32 v3, v3, v24
	v_add_f32_e32 v48, v48, v52
	v_mul_f32_e32 v52, 0x3f0a6770, v34
	v_add_f32_e32 v33, v33, v36
	v_fma_f32 v36, v37, s6, -v50
	v_sub_f32_e32 v12, v32, v12
	v_mul_f32_e32 v13, 0xbe903f40, v34
	v_add_f32_e32 v3, v22, v3
	v_mov_b32_e32 v53, v52
	v_add_f32_e32 v33, v36, v33
	v_fma_f32 v36, v38, s10, -v51
	v_add_f32_e32 v11, v11, v12
	v_sub_f32_e32 v12, v35, v13
	v_add_f32_e32 v3, v26, v3
	v_fmac_f32_e32 v53, 0x3f575c64, v39
	v_add_f32_e32 v33, v33, v36
	v_fma_f32 v36, v39, s14, -v52
	v_add_f32_e32 v11, v12, v11
	v_add_f32_e32 v3, v28, v3
	v_mad_u32_u24 v12, v2, 44, 0
	v_add_f32_e32 v48, v53, v48
	v_add_f32_e32 v33, v36, v33
	ds_write2_b32 v12, v3, v11 offset1:1
	ds_write2_b32 v12, v33, v44 offset0:2 offset1:3
	ds_write2_b32 v12, v42, v40 offset0:4 offset1:5
	;; [unrolled: 1-line block ×4, first 2 shown]
	ds_write_b32 v12, v45 offset:40
.LBB0_13:
	s_or_b64 exec, exec, s[4:5]
	v_sub_f32_e32 v41, v5, v28
	v_add_f32_e32 v39, v6, v29
	v_mul_f32_e32 v42, 0xbf0a6770, v41
	v_sub_f32_e32 v38, v7, v26
	v_fma_f32 v3, v39, s14, -v42
	v_add_f32_e32 v36, v8, v27
	v_mul_f32_e32 v40, 0xbf68dda4, v38
	v_sub_f32_e32 v34, v9, v22
	v_add_f32_e32 v3, v4, v3
	v_fma_f32 v5, v36, s11, -v40
	v_add_f32_e32 v28, v10, v23
	v_mul_f32_e32 v37, 0xbf7d64f0, v34
	v_sub_f32_e32 v24, v16, v24
	v_add_f32_e32 v3, v3, v5
	v_fma_f32 v5, v28, s10, -v37
	v_add_f32_e32 v22, v17, v25
	v_mul_f32_e32 v35, 0xbf4178ce, v24
	v_add_f32_e32 v3, v5, v3
	v_fma_f32 v5, v22, s7, -v35
	v_lshl_add_u32 v44, v2, 2, 0
	v_add_f32_e32 v43, v3, v5
	v_sub_f32_e32 v7, v18, v20
	v_add_u32_e32 v5, 0xc00, v44
	v_add_u32_e32 v9, 0x1200, v44
	;; [unrolled: 1-line block ×4, first 2 shown]
	s_waitcnt lgkmcnt(0)
	s_barrier
	ds_read2_b32 v[30:31], v44 offset1:198
	ds_read2_b32 v[15:16], v5 offset0:24 offset1:222
	ds_read2_b32 v[13:14], v9 offset0:36 offset1:234
	;; [unrolled: 1-line block ×4, first 2 shown]
	v_add_f32_e32 v3, v19, v21
	v_mul_f32_e32 v26, 0xbe903f40, v7
	v_fma_f32 v46, v3, s6, -v26
	v_add_f32_e32 v46, v46, v43
	s_waitcnt lgkmcnt(0)
	s_barrier
	s_and_saveexec_b64 s[4:5], s[2:3]
	s_cbranch_execz .LBB0_15
; %bb.14:
	v_add_f32_e32 v6, v4, v6
	v_add_f32_e32 v6, v6, v8
	;; [unrolled: 1-line block ×9, first 2 shown]
	v_mul_f32_e32 v27, 0xbe903f40, v41
	v_mul_f32_e32 v43, 0x3f575c64, v39
	v_add_f32_e32 v6, v29, v6
	v_mul_f32_e32 v10, 0xbf68dda4, v41
	s_mov_b32 s2, 0x3ed4b147
	v_mul_f32_e32 v19, 0xbf7d64f0, v41
	s_mov_b32 s3, 0xbe11bafb
	;; [unrolled: 2-line block ×3, first 2 shown]
	s_mov_b32 s7, 0xbf75a155
	v_mov_b32_e32 v29, v27
	v_mul_f32_e32 v47, 0x3ed4b147, v36
	v_add_f32_e32 v8, v43, v42
	v_fma_f32 v17, v39, s2, -v10
	v_fmac_f32_e32 v10, 0x3ed4b147, v39
	v_fma_f32 v21, v39, s3, -v19
	v_fmac_f32_e32 v19, 0xbe11bafb, v39
	;; [unrolled: 2-line block ×3, first 2 shown]
	v_fmac_f32_e32 v29, 0xbf75a155, v39
	v_fma_f32 v27, v39, s7, -v27
	v_add_f32_e32 v8, v4, v8
	v_add_f32_e32 v10, v4, v10
	;; [unrolled: 1-line block ×11, first 2 shown]
	v_mul_f32_e32 v27, 0xbf4178ce, v38
	v_fma_f32 v39, v36, s6, -v27
	v_fmac_f32_e32 v27, 0xbf27a4f4, v36
	v_add_f32_e32 v10, v10, v27
	v_mul_f32_e32 v27, 0x3e903f40, v38
	v_add_f32_e32 v17, v17, v39
	v_fma_f32 v39, v36, s7, -v27
	v_fmac_f32_e32 v27, 0xbf75a155, v36
	v_add_f32_e32 v19, v19, v27
	v_mul_f32_e32 v27, 0x3f7d64f0, v38
	v_add_f32_e32 v21, v21, v39
	v_fma_f32 v39, v36, s3, -v27
	v_fmac_f32_e32 v27, 0xbe11bafb, v36
	v_add_f32_e32 v23, v23, v27
	v_mul_f32_e32 v27, 0x3f0a6770, v38
	s_mov_b32 s10, 0x3f575c64
	v_mul_f32_e32 v48, 0xbe11bafb, v28
	v_mov_b32_e32 v38, v27
	v_fma_f32 v27, v36, s10, -v27
	v_add_f32_e32 v4, v4, v27
	v_add_f32_e32 v27, v48, v37
	;; [unrolled: 1-line block ×3, first 2 shown]
	v_mul_f32_e32 v27, 0x3e903f40, v34
	v_fmac_f32_e32 v38, 0x3f575c64, v36
	v_fma_f32 v36, v28, s7, -v27
	v_fmac_f32_e32 v27, 0xbf75a155, v28
	v_add_f32_e32 v10, v27, v10
	v_mul_f32_e32 v27, 0x3f68dda4, v34
	v_add_f32_e32 v17, v36, v17
	v_fma_f32 v36, v28, s2, -v27
	v_fmac_f32_e32 v27, 0x3ed4b147, v28
	v_add_f32_e32 v19, v27, v19
	v_mul_f32_e32 v27, 0xbf0a6770, v34
	v_add_f32_e32 v21, v36, v21
	v_fma_f32 v36, v28, s10, -v27
	v_fmac_f32_e32 v27, 0x3f575c64, v28
	v_add_f32_e32 v23, v27, v23
	v_mul_f32_e32 v27, 0xbf4178ce, v34
	v_mul_f32_e32 v49, 0xbf27a4f4, v22
	v_mov_b32_e32 v34, v27
	v_fma_f32 v27, v28, s6, -v27
	v_add_f32_e32 v4, v27, v4
	v_add_f32_e32 v27, v49, v35
	;; [unrolled: 1-line block ×3, first 2 shown]
	v_mul_f32_e32 v27, 0x3f7d64f0, v24
	v_fmac_f32_e32 v34, 0xbf27a4f4, v28
	v_fma_f32 v28, v22, s3, -v27
	v_fmac_f32_e32 v27, 0xbe11bafb, v22
	v_add_f32_e32 v10, v10, v27
	v_mul_f32_e32 v27, 0xbf0a6770, v24
	v_add_f32_e32 v17, v17, v28
	v_fma_f32 v28, v22, s10, -v27
	v_fmac_f32_e32 v27, 0x3f575c64, v22
	v_add_f32_e32 v19, v19, v27
	v_mul_f32_e32 v27, 0xbe903f40, v24
	v_add_f32_e32 v21, v21, v28
	v_fma_f32 v28, v22, s7, -v27
	v_fmac_f32_e32 v27, 0xbf75a155, v22
	v_mul_f32_e32 v24, 0x3f68dda4, v24
	v_add_f32_e32 v23, v23, v27
	v_mov_b32_e32 v27, v24
	v_mul_f32_e32 v50, 0xbf75a155, v3
	v_fmac_f32_e32 v27, 0x3ed4b147, v22
	v_fma_f32 v22, v22, s2, -v24
	v_add_f32_e32 v4, v4, v22
	v_add_f32_e32 v22, v50, v26
	;; [unrolled: 1-line block ×3, first 2 shown]
	v_mul_f32_e32 v22, 0x3f0a6770, v7
	v_fma_f32 v24, v3, s10, -v22
	v_fmac_f32_e32 v22, 0x3f575c64, v3
	v_add_f32_e32 v10, v22, v10
	v_mul_f32_e32 v22, 0xbf4178ce, v7
	v_add_f32_e32 v25, v25, v39
	v_add_f32_e32 v17, v24, v17
	v_fma_f32 v24, v3, s6, -v22
	v_fmac_f32_e32 v22, 0xbf27a4f4, v3
	v_add_f32_e32 v25, v36, v25
	v_add_f32_e32 v19, v22, v19
	v_mul_f32_e32 v22, 0x3f68dda4, v7
	v_add_f32_e32 v25, v25, v28
	v_add_f32_e32 v21, v24, v21
	v_fma_f32 v24, v3, s2, -v22
	v_fmac_f32_e32 v22, 0x3ed4b147, v3
	v_mul_f32_e32 v7, 0xbf7d64f0, v7
	v_add_f32_e32 v29, v29, v38
	v_add_f32_e32 v22, v22, v23
	v_add_f32_e32 v23, v24, v25
	v_mov_b32_e32 v24, v7
	v_add_f32_e32 v29, v34, v29
	v_fmac_f32_e32 v24, 0xbe11bafb, v3
	v_fma_f32 v3, v3, s3, -v7
	v_add_f32_e32 v27, v29, v27
	v_add_f32_e32 v3, v3, v4
	v_mad_u32_u24 v4, v2, 40, v44
	v_add_f32_e32 v24, v24, v27
	ds_write2_b32 v4, v6, v8 offset1:1
	ds_write2_b32 v4, v10, v19 offset0:2 offset1:3
	ds_write2_b32 v4, v22, v24 offset0:4 offset1:5
	;; [unrolled: 1-line block ×4, first 2 shown]
	ds_write_b32 v4, v46 offset:40
.LBB0_15:
	s_or_b64 exec, exec, s[4:5]
	s_movk_i32 s2, 0x75
	v_mul_lo_u16_sdwa v7, v2, s2 dst_sel:DWORD dst_unused:UNUSED_PAD src0_sel:BYTE_0 src1_sel:DWORD
	v_sub_u16_sdwa v8, v2, v7 dst_sel:DWORD dst_unused:UNUSED_PAD src0_sel:DWORD src1_sel:BYTE_1
	v_lshrrev_b16_e32 v8, 1, v8
	v_and_b32_e32 v8, 0x7f, v8
	v_add_u16_sdwa v7, v8, v7 dst_sel:DWORD dst_unused:UNUSED_PAD src0_sel:DWORD src1_sel:BYTE_1
	v_lshrrev_b16_e32 v10, 3, v7
	v_mul_lo_u16_e32 v7, 11, v10
	v_add_u32_e32 v3, 0xc6, v2
	v_sub_u16_e32 v17, v2, v7
	v_mov_b32_e32 v7, 3
	s_mov_b32 s2, 0xba2f
	v_lshlrev_b32_sdwa v19, v7, v17 dst_sel:DWORD dst_unused:UNUSED_PAD src0_sel:DWORD src1_sel:BYTE_0
	v_mul_u32_u24_sdwa v7, v3, s2 dst_sel:DWORD dst_unused:UNUSED_PAD src0_sel:WORD_0 src1_sel:DWORD
	v_lshrrev_b32_e32 v47, 19, v7
	v_add_u32_e32 v29, 0x18c, v2
	v_mul_lo_u16_e32 v7, 11, v47
	v_sub_u16_e32 v48, v3, v7
	v_mul_u32_u24_sdwa v7, v29, s2 dst_sel:DWORD dst_unused:UNUSED_PAD src0_sel:WORD_0 src1_sel:DWORD
	v_lshrrev_b32_e32 v49, 19, v7
	v_add_u32_e32 v6, 0x252, v2
	v_mul_lo_u16_e32 v7, 11, v49
	v_add_u32_e32 v4, 0x318, v2
	v_sub_u16_e32 v50, v29, v7
	v_mul_u32_u24_sdwa v7, v6, s2 dst_sel:DWORD dst_unused:UNUSED_PAD src0_sel:WORD_0 src1_sel:DWORD
	v_lshrrev_b32_e32 v51, 19, v7
	v_mul_u32_u24_sdwa v7, v4, s2 dst_sel:DWORD dst_unused:UNUSED_PAD src0_sel:WORD_0 src1_sel:DWORD
	v_lshrrev_b32_e32 v52, 19, v7
	v_mul_lo_u16_e32 v7, 11, v52
	v_sub_u16_e32 v53, v4, v7
	v_lshlrev_b32_e32 v7, 3, v53
	s_waitcnt lgkmcnt(0)
	s_barrier
	global_load_dwordx2 v[7:8], v7, s[8:9]
	v_mul_lo_u16_e32 v23, 11, v51
	v_sub_u16_e32 v54, v6, v23
	v_lshlrev_b32_e32 v21, 3, v48
	v_lshlrev_b32_e32 v22, 3, v50
	;; [unrolled: 1-line block ×3, first 2 shown]
	global_load_dwordx2 v[38:39], v19, s[8:9]
	global_load_dwordx2 v[36:37], v21, s[8:9]
	;; [unrolled: 1-line block ×4, first 2 shown]
	ds_read2_b32 v[25:26], v44 offset1:198
	ds_read2_b32 v[21:22], v5 offset0:24 offset1:222
	ds_read2_b32 v[42:43], v9 offset0:36 offset1:234
	;; [unrolled: 1-line block ×4, first 2 shown]
	v_mov_b32_e32 v5, 2
	v_mul_u32_u24_e32 v9, 0x58, v47
	v_lshlrev_b32_e32 v47, 2, v48
	v_add3_u32 v47, 0, v9, v47
	v_mul_u32_u24_e32 v9, 0x58, v10
	v_lshlrev_b32_sdwa v5, v5, v17 dst_sel:DWORD dst_unused:UNUSED_PAD src0_sel:DWORD src1_sel:BYTE_0
	v_mul_u32_u24_e32 v19, 0x58, v51
	v_add3_u32 v51, 0, v9, v5
	v_mul_u32_u24_e32 v18, 0x58, v49
	v_lshlrev_b32_e32 v48, 2, v50
	v_add3_u32 v48, 0, v18, v48
	v_lshlrev_b32_e32 v49, 2, v54
	v_mul_u32_u24_e32 v20, 0x58, v52
	v_lshlrev_b32_e32 v50, 2, v53
	v_add3_u32 v49, 0, v19, v49
	v_add3_u32 v50, 0, v20, v50
	s_waitcnt vmcnt(0) lgkmcnt(0)
	s_barrier
	v_add_u32_e32 v52, 0x1400, v44
	s_movk_i32 s2, 0x42
	v_cmp_gt_u32_e32 vcc, s2, v2
	v_mul_f32_e32 v5, v41, v8
	v_fma_f32 v5, v12, v7, -v5
	v_sub_f32_e32 v5, v15, v5
	v_mul_f32_e32 v10, v22, v39
	v_fma_f32 v9, v15, 2.0, -v5
	v_mul_f32_e32 v15, v42, v37
	v_mul_f32_e32 v17, v43, v35
	;; [unrolled: 1-line block ×3, first 2 shown]
	v_fma_f32 v10, v16, v38, -v10
	v_fma_f32 v15, v13, v36, -v15
	;; [unrolled: 1-line block ×4, first 2 shown]
	v_sub_f32_e32 v10, v30, v10
	v_sub_f32_e32 v15, v31, v15
	;; [unrolled: 1-line block ×4, first 2 shown]
	v_fma_f32 v19, v30, 2.0, -v10
	v_fma_f32 v20, v31, 2.0, -v15
	;; [unrolled: 1-line block ×4, first 2 shown]
	ds_write2_b32 v51, v19, v10 offset1:11
	ds_write2_b32 v47, v20, v15 offset1:11
	;; [unrolled: 1-line block ×5, first 2 shown]
	v_add_u32_e32 v15, 0xa00, v44
	s_waitcnt lgkmcnt(0)
	s_barrier
	ds_read2_b32 v[9:10], v44 offset1:198
	ds_read2_b32 v[17:18], v15 offset0:20 offset1:218
	ds_read2_b32 v[19:20], v52 offset0:40 offset1:238
	ds_read_b32 v30, v44 offset:1584
	ds_read_b32 v33, v44 offset:4224
	;; [unrolled: 1-line block ×3, first 2 shown]
                                        ; implicit-def: $vgpr31
	s_and_saveexec_b64 s[2:3], vcc
	s_cbranch_execz .LBB0_17
; %bb.16:
	ds_read_b32 v5, v44 offset:2376
	ds_read_b32 v45, v44 offset:5016
	ds_read_b32 v31, v44 offset:7656
.LBB0_17:
	s_or_b64 exec, exec, s[2:3]
	v_mul_f32_e32 v16, v16, v39
	v_mul_f32_e32 v14, v14, v35
	;; [unrolled: 1-line block ×4, first 2 shown]
	v_fmac_f32_e32 v16, v22, v38
	v_mul_f32_e32 v13, v13, v37
	v_fmac_f32_e32 v14, v43, v34
	v_fmac_f32_e32 v11, v40, v27
	;; [unrolled: 1-line block ×4, first 2 shown]
	v_sub_f32_e32 v7, v25, v16
	v_sub_f32_e32 v14, v23, v14
	;; [unrolled: 1-line block ×4, first 2 shown]
	v_fma_f32 v12, v25, 2.0, -v7
	v_sub_f32_e32 v13, v26, v13
	v_fma_f32 v23, v23, 2.0, -v14
	v_fma_f32 v24, v24, 2.0, -v11
	;; [unrolled: 1-line block ×4, first 2 shown]
	s_waitcnt lgkmcnt(0)
	s_barrier
	ds_write2_b32 v51, v12, v7 offset1:11
	ds_write2_b32 v47, v16, v13 offset1:11
	;; [unrolled: 1-line block ×5, first 2 shown]
	s_waitcnt lgkmcnt(0)
	s_barrier
	ds_read2_b32 v[7:8], v44 offset1:198
	ds_read2_b32 v[13:14], v15 offset0:20 offset1:218
	ds_read2_b32 v[11:12], v52 offset0:40 offset1:238
	ds_read_b32 v15, v44 offset:1584
	ds_read_b32 v24, v44 offset:4224
	;; [unrolled: 1-line block ×3, first 2 shown]
                                        ; implicit-def: $vgpr21
	s_and_saveexec_b64 s[2:3], vcc
	s_cbranch_execz .LBB0_19
; %bb.18:
	ds_read_b32 v22, v44 offset:2376
	ds_read_b32 v46, v44 offset:5016
	;; [unrolled: 1-line block ×3, first 2 shown]
.LBB0_19:
	s_or_b64 exec, exec, s[2:3]
	v_lshrrev_b16_e32 v16, 1, v2
	v_and_b32_e32 v16, 0x7f, v16
	v_mul_lo_u16_e32 v16, 0xbb, v16
	s_mov_b32 s2, 0xba2f
	v_lshrrev_b16_e32 v25, 11, v16
	v_mul_u32_u24_sdwa v16, v29, s2 dst_sel:DWORD dst_unused:UNUSED_PAD src0_sel:WORD_0 src1_sel:DWORD
	v_lshrrev_b32_e32 v55, 20, v16
	v_mul_lo_u16_e32 v16, 22, v55
	v_sub_u16_e32 v56, v29, v16
	v_mul_u32_u24_sdwa v16, v6, s2 dst_sel:DWORD dst_unused:UNUSED_PAD src0_sel:WORD_0 src1_sel:DWORD
	v_lshlrev_b32_e32 v27, 4, v56
	v_lshrrev_b32_e32 v16, 20, v16
	global_load_dwordx4 v[36:39], v27, s[8:9] offset:88
	v_mul_lo_u16_e32 v27, 22, v16
	v_sub_u16_e32 v57, v6, v27
	v_mul_lo_u16_e32 v26, 22, v25
	v_lshlrev_b32_e32 v27, 4, v57
	global_load_dwordx4 v[40:43], v27, s[8:9] offset:88
	v_sub_u16_e32 v26, v2, v26
	v_mov_b32_e32 v27, 4
	v_lshlrev_b32_sdwa v27, v27, v26 dst_sel:DWORD dst_unused:UNUSED_PAD src0_sel:DWORD src1_sel:BYTE_0
	global_load_dwordx4 v[47:50], v27, s[8:9] offset:88
	v_mul_u32_u24_sdwa v27, v3, s2 dst_sel:DWORD dst_unused:UNUSED_PAD src0_sel:WORD_0 src1_sel:DWORD
	v_lshrrev_b32_e32 v58, 20, v27
	v_mul_lo_u16_e32 v27, 22, v58
	v_sub_u16_e32 v59, v3, v27
	v_lshlrev_b32_e32 v27, 4, v59
	global_load_dwordx4 v[51:54], v27, s[8:9] offset:88
	s_waitcnt vmcnt(0) lgkmcnt(0)
	s_barrier
	v_mul_f32_e32 v34, v33, v37
	v_mul_f32_e32 v35, v32, v39
	;; [unrolled: 1-line block ×4, first 2 shown]
	v_fmac_f32_e32 v34, v24, v36
	v_mul_f32_e32 v62, v46, v41
	v_mul_f32_e32 v27, v45, v41
	;; [unrolled: 1-line block ×8, first 2 shown]
	v_fmac_f32_e32 v35, v23, v38
	v_fma_f32 v24, v45, v40, -v62
	v_mul_f32_e32 v50, v14, v52
	v_mul_f32_e32 v23, v12, v54
	v_fma_f32 v31, v31, v42, -v41
	v_fma_f32 v33, v33, v36, -v60
	;; [unrolled: 1-line block ×3, first 2 shown]
	v_mul_f32_e32 v36, v18, v52
	v_mul_f32_e32 v38, v20, v54
	v_fmac_f32_e32 v27, v46, v40
	v_fma_f32 v40, v17, v47, -v43
	v_fma_f32 v17, v18, v51, -v50
	;; [unrolled: 1-line block ×3, first 2 shown]
	v_add_f32_e32 v20, v24, v31
	v_fmac_f32_e32 v28, v21, v42
	v_fma_f32 v41, v19, v49, -v48
	v_fmac_f32_e32 v36, v14, v51
	v_fmac_f32_e32 v38, v12, v53
	v_add_f32_e32 v12, v33, v32
	v_add_f32_e32 v14, v5, v24
	;; [unrolled: 1-line block ×3, first 2 shown]
	v_fmac_f32_e32 v5, -0.5, v20
	v_fmac_f32_e32 v39, v11, v49
	v_add_f32_e32 v11, v30, v33
	v_sub_f32_e32 v23, v27, v28
	v_add_f32_e32 v42, v40, v41
	v_fmac_f32_e32 v30, -0.5, v12
	v_add_f32_e32 v12, v21, v41
	v_mov_b32_e32 v21, v5
	v_fmac_f32_e32 v37, v13, v47
	v_sub_f32_e32 v13, v34, v35
	v_add_f32_e32 v45, v10, v17
	v_fma_f32 v9, -0.5, v42, v9
	v_mov_b32_e32 v20, v30
	v_fmac_f32_e32 v5, 0xbf5db3d7, v23
	v_fmac_f32_e32 v21, 0x3f5db3d7, v23
	v_mov_b32_e32 v23, 2
	v_sub_f32_e32 v43, v37, v39
	v_add_f32_e32 v46, v17, v18
	v_add_f32_e32 v19, v14, v31
	;; [unrolled: 1-line block ×3, first 2 shown]
	v_fmac_f32_e32 v30, 0xbf5db3d7, v13
	v_mov_b32_e32 v45, v9
	v_fmac_f32_e32 v20, 0x3f5db3d7, v13
	v_mul_u32_u24_e32 v13, 0x108, v25
	v_lshlrev_b32_sdwa v23, v23, v26 dst_sel:DWORD dst_unused:UNUSED_PAD src0_sel:DWORD src1_sel:BYTE_0
	v_fmac_f32_e32 v10, -0.5, v46
	v_fmac_f32_e32 v9, 0xbf5db3d7, v43
	v_fmac_f32_e32 v45, 0x3f5db3d7, v43
	v_add3_u32 v42, 0, v13, v23
	v_sub_f32_e32 v47, v36, v38
	v_mov_b32_e32 v46, v10
	ds_write2_b32 v42, v12, v45 offset1:22
	ds_write_b32 v42, v9 offset:176
	v_mul_u32_u24_e32 v9, 0x108, v58
	v_lshlrev_b32_e32 v12, 2, v59
	v_fmac_f32_e32 v10, 0xbf5db3d7, v47
	v_fmac_f32_e32 v46, 0x3f5db3d7, v47
	v_add3_u32 v43, 0, v9, v12
	ds_write2_b32 v43, v14, v46 offset1:22
	ds_write_b32 v43, v10 offset:176
	v_mul_u32_u24_e32 v9, 0x108, v55
	v_lshlrev_b32_e32 v10, 2, v56
	v_add_f32_e32 v11, v11, v32
	v_add3_u32 v45, 0, v9, v10
	ds_write2_b32 v45, v11, v20 offset1:22
	ds_write_b32 v45, v30 offset:176
	v_lshlrev_b32_e32 v30, 2, v57
	s_and_saveexec_b64 s[2:3], vcc
	s_cbranch_execz .LBB0_21
; %bb.20:
	v_mul_lo_u16_e32 v9, 0x42, v16
	v_lshlrev_b32_e32 v9, 2, v9
	v_add3_u32 v9, 0, v30, v9
	ds_write2_b32 v9, v19, v21 offset1:22
	ds_write_b32 v9, v5 offset:176
.LBB0_21:
	s_or_b64 exec, exec, s[2:3]
	v_add_u32_e32 v11, 0xa00, v44
	v_add_u32_e32 v13, 0x1400, v44
	s_waitcnt lgkmcnt(0)
	s_barrier
	ds_read2_b32 v[9:10], v44 offset1:198
	ds_read2_b32 v[11:12], v11 offset0:20 offset1:218
	ds_read2_b32 v[13:14], v13 offset0:40 offset1:238
	ds_read_b32 v23, v44 offset:1584
	ds_read_b32 v26, v44 offset:4224
	;; [unrolled: 1-line block ×3, first 2 shown]
	s_and_saveexec_b64 s[2:3], vcc
	s_cbranch_execz .LBB0_23
; %bb.22:
	ds_read_b32 v19, v44 offset:2376
	ds_read_b32 v21, v44 offset:5016
	;; [unrolled: 1-line block ×3, first 2 shown]
.LBB0_23:
	s_or_b64 exec, exec, s[2:3]
	v_add_f32_e32 v20, v7, v37
	v_add_f32_e32 v46, v20, v39
	;; [unrolled: 1-line block ×3, first 2 shown]
	v_fma_f32 v7, -0.5, v20, v7
	v_sub_f32_e32 v20, v40, v41
	v_mov_b32_e32 v37, v7
	v_fmac_f32_e32 v37, 0xbf5db3d7, v20
	v_fmac_f32_e32 v7, 0x3f5db3d7, v20
	v_add_f32_e32 v20, v8, v36
	v_add_f32_e32 v39, v20, v38
	;; [unrolled: 1-line block ×3, first 2 shown]
	v_fmac_f32_e32 v8, -0.5, v20
	v_sub_f32_e32 v17, v17, v18
	v_mov_b32_e32 v18, v8
	v_add_f32_e32 v20, v34, v35
	v_fmac_f32_e32 v18, 0xbf5db3d7, v17
	v_fmac_f32_e32 v8, 0x3f5db3d7, v17
	v_add_f32_e32 v17, v15, v34
	v_fmac_f32_e32 v15, -0.5, v20
	v_sub_f32_e32 v20, v33, v32
	v_mov_b32_e32 v32, v15
	v_fmac_f32_e32 v32, 0xbf5db3d7, v20
	v_fmac_f32_e32 v15, 0x3f5db3d7, v20
	v_add_f32_e32 v20, v22, v27
	v_add_f32_e32 v27, v27, v28
	v_fmac_f32_e32 v22, -0.5, v27
	v_sub_f32_e32 v24, v24, v31
	v_mov_b32_e32 v27, v22
	v_add_f32_e32 v20, v20, v28
	v_fmac_f32_e32 v27, 0xbf5db3d7, v24
	v_fmac_f32_e32 v22, 0x3f5db3d7, v24
	v_add_f32_e32 v17, v17, v35
	s_waitcnt lgkmcnt(0)
	s_barrier
	ds_write2_b32 v42, v46, v37 offset1:22
	ds_write_b32 v42, v7 offset:176
	ds_write2_b32 v43, v39, v18 offset1:22
	ds_write_b32 v43, v8 offset:176
	;; [unrolled: 2-line block ×3, first 2 shown]
	s_and_saveexec_b64 s[2:3], vcc
	s_cbranch_execz .LBB0_25
; %bb.24:
	v_mul_lo_u16_e32 v7, 0x42, v16
	v_lshlrev_b32_e32 v7, 2, v7
	v_add3_u32 v7, 0, v30, v7
	ds_write2_b32 v7, v20, v27 offset1:22
	ds_write_b32 v7, v22 offset:176
.LBB0_25:
	s_or_b64 exec, exec, s[2:3]
	v_add_u32_e32 v15, 0xa00, v44
	v_add_u32_e32 v17, 0x1400, v44
	s_waitcnt lgkmcnt(0)
	s_barrier
	ds_read2_b32 v[7:8], v44 offset1:198
	ds_read2_b32 v[15:16], v15 offset0:20 offset1:218
	ds_read2_b32 v[17:18], v17 offset0:40 offset1:238
	ds_read_b32 v24, v44 offset:1584
	ds_read_b32 v30, v44 offset:4224
	;; [unrolled: 1-line block ×3, first 2 shown]
	s_and_saveexec_b64 s[2:3], vcc
	s_cbranch_execz .LBB0_27
; %bb.26:
	ds_read_b32 v20, v44 offset:2376
	ds_read_b32 v27, v44 offset:5016
	;; [unrolled: 1-line block ×3, first 2 shown]
.LBB0_27:
	s_or_b64 exec, exec, s[2:3]
	s_movk_i32 s2, 0xf9
	v_mul_lo_u16_sdwa v31, v2, s2 dst_sel:DWORD dst_unused:UNUSED_PAD src0_sel:BYTE_0 src1_sel:DWORD
	s_mov_b32 s2, 0xf83f
	v_mul_u32_u24_sdwa v34, v3, s2 dst_sel:DWORD dst_unused:UNUSED_PAD src0_sel:WORD_0 src1_sel:DWORD
	v_lshrrev_b16_e32 v31, 14, v31
	v_lshrrev_b32_e32 v34, 22, v34
	v_mul_lo_u16_e32 v32, 0x42, v31
	v_mul_lo_u16_e32 v35, 0x42, v34
	v_sub_u16_e32 v32, v2, v32
	v_mov_b32_e32 v33, 4
	v_sub_u16_e32 v57, v3, v35
	v_lshlrev_b32_sdwa v33, v33, v32 dst_sel:DWORD dst_unused:UNUSED_PAD src0_sel:DWORD src1_sel:BYTE_0
	v_lshlrev_b32_e32 v3, 4, v57
	global_load_dwordx4 v[40:43], v33, s[8:9] offset:440
	global_load_dwordx4 v[45:48], v3, s[8:9] offset:440
	v_mul_u32_u24_sdwa v3, v29, s2 dst_sel:DWORD dst_unused:UNUSED_PAD src0_sel:WORD_0 src1_sel:DWORD
	v_lshrrev_b32_e32 v58, 22, v3
	v_mul_lo_u16_e32 v3, 0x42, v58
	v_sub_u16_e32 v59, v29, v3
	v_mul_u32_u24_sdwa v33, v6, s2 dst_sel:DWORD dst_unused:UNUSED_PAD src0_sel:WORD_0 src1_sel:DWORD
	v_lshlrev_b32_e32 v3, 4, v59
	v_lshrrev_b32_e32 v33, 22, v33
	global_load_dwordx4 v[49:52], v3, s[8:9] offset:440
	v_mul_lo_u16_e32 v3, 0x42, v33
	v_sub_u16_e32 v60, v6, v3
	v_lshlrev_b32_e32 v3, 4, v60
	global_load_dwordx4 v[53:56], v3, s[8:9] offset:440
	v_mov_b32_e32 v3, 2
	v_mul_u32_u24_e32 v31, 0x318, v31
	v_lshlrev_b32_sdwa v3, v3, v32 dst_sel:DWORD dst_unused:UNUSED_PAD src0_sel:DWORD src1_sel:BYTE_0
	v_mul_u32_u24_e32 v61, 0x318, v34
	v_add3_u32 v31, 0, v31, v3
	s_waitcnt vmcnt(0) lgkmcnt(0)
	s_barrier
	v_mul_f32_e32 v33, v15, v41
	v_mul_f32_e32 v37, v11, v41
	;; [unrolled: 1-line block ×7, first 2 shown]
	v_fma_f32 v39, v11, v40, -v33
	v_fmac_f32_e32 v37, v15, v40
	v_fma_f32 v15, v13, v42, -v41
	v_mul_f32_e32 v36, v14, v48
	v_mul_f32_e32 v48, v30, v50
	v_mul_f32_e32 v3, v26, v50
	v_mul_f32_e32 v50, v28, v52
	v_mul_f32_e32 v34, v25, v52
	v_mul_f32_e32 v52, v27, v54
	v_fmac_f32_e32 v38, v17, v42
	v_mul_f32_e32 v17, v22, v56
	v_fma_f32 v13, v12, v45, -v43
	v_fmac_f32_e32 v35, v16, v45
	v_fma_f32 v14, v14, v47, -v46
	v_add_f32_e32 v16, v39, v15
	v_mul_f32_e32 v32, v21, v54
	v_mul_f32_e32 v33, v5, v56
	v_fma_f32 v11, v26, v49, -v48
	v_fma_f32 v12, v25, v51, -v50
	;; [unrolled: 1-line block ×4, first 2 shown]
	v_add_f32_e32 v5, v9, v39
	v_sub_f32_e32 v17, v37, v38
	v_add_f32_e32 v21, v13, v14
	v_fma_f32 v9, -0.5, v16, v9
	v_fmac_f32_e32 v36, v18, v47
	v_fmac_f32_e32 v34, v28, v51
	v_add_f32_e32 v18, v10, v13
	v_add_f32_e32 v28, v11, v12
	;; [unrolled: 1-line block ×3, first 2 shown]
	v_fmac_f32_e32 v10, -0.5, v21
	v_mov_b32_e32 v21, v9
	v_fmac_f32_e32 v9, 0xbf5db3d7, v17
	v_fmac_f32_e32 v3, v30, v49
	;; [unrolled: 1-line block ×4, first 2 shown]
	v_sub_f32_e32 v22, v35, v36
	v_add_f32_e32 v27, v23, v11
	v_fmac_f32_e32 v23, -0.5, v28
	v_mov_b32_e32 v28, v10
	v_fmac_f32_e32 v21, 0x3f5db3d7, v17
	ds_write_b32 v31, v9 offset:528
	ds_write2_b32 v31, v5, v21 offset1:66
	v_lshlrev_b32_e32 v5, 2, v57
	v_sub_f32_e32 v30, v3, v34
	v_add_f32_e32 v16, v18, v14
	v_add_f32_e32 v18, v27, v12
	v_mov_b32_e32 v40, v23
	v_fmac_f32_e32 v28, 0x3f5db3d7, v22
	v_add3_u32 v27, 0, v61, v5
	v_mul_u32_u24_e32 v5, 0x318, v58
	v_lshlrev_b32_e32 v9, 2, v59
	v_fmac_f32_e32 v10, 0xbf5db3d7, v22
	v_fmac_f32_e32 v40, 0x3f5db3d7, v30
	ds_write2_b32 v27, v16, v28 offset1:66
	ds_write_b32 v27, v10 offset:528
	v_add3_u32 v28, 0, v5, v9
	v_lshl_add_u32 v22, v60, 2, 0
	v_fmac_f32_e32 v23, 0xbf5db3d7, v30
	ds_write2_b32 v28, v18, v40 offset1:66
	ds_write_b32 v28, v23 offset:528
	s_and_saveexec_b64 s[2:3], vcc
	s_cbranch_execz .LBB0_29
; %bb.28:
	v_add_f32_e32 v5, v25, v26
	v_fma_f32 v5, -0.5, v5, v19
	v_sub_f32_e32 v9, v32, v33
	v_mov_b32_e32 v10, v5
	v_fmac_f32_e32 v10, 0xbf5db3d7, v9
	v_fmac_f32_e32 v5, 0x3f5db3d7, v9
	v_add_f32_e32 v9, v19, v25
	v_add_f32_e32 v9, v9, v26
	v_add_u32_e32 v16, 0x1a00, v22
	ds_write2_b32 v16, v9, v5 offset0:118 offset1:184
	ds_write_b32 v22, v10 offset:7656
.LBB0_29:
	s_or_b64 exec, exec, s[2:3]
	v_add_f32_e32 v5, v7, v37
	v_add_f32_e32 v23, v5, v38
	;; [unrolled: 1-line block ×3, first 2 shown]
	v_fma_f32 v7, -0.5, v5, v7
	v_sub_f32_e32 v5, v39, v15
	v_mov_b32_e32 v30, v7
	v_fmac_f32_e32 v30, 0xbf5db3d7, v5
	v_fmac_f32_e32 v7, 0x3f5db3d7, v5
	v_add_f32_e32 v5, v8, v35
	v_add_f32_e32 v37, v5, v36
	;; [unrolled: 1-line block ×3, first 2 shown]
	v_fmac_f32_e32 v8, -0.5, v5
	v_sub_f32_e32 v5, v13, v14
	v_mov_b32_e32 v35, v8
	v_fmac_f32_e32 v35, 0xbf5db3d7, v5
	v_fmac_f32_e32 v8, 0x3f5db3d7, v5
	v_add_f32_e32 v5, v24, v3
	v_add_f32_e32 v3, v3, v34
	v_fmac_f32_e32 v24, -0.5, v3
	v_add_f32_e32 v36, v5, v34
	v_sub_f32_e32 v3, v11, v12
	v_mov_b32_e32 v34, v24
	v_fmac_f32_e32 v34, 0xbf5db3d7, v3
	v_fmac_f32_e32 v24, 0x3f5db3d7, v3
	v_add_u32_e32 v3, 0x600, v44
	v_add_u32_e32 v5, 0xc00, v44
	;; [unrolled: 1-line block ×4, first 2 shown]
	s_waitcnt lgkmcnt(0)
	s_barrier
	ds_read2_b32 v[9:10], v44 offset1:198
	ds_read2_b32 v[11:12], v3 offset0:12 offset1:210
	ds_read2_b32 v[13:14], v5 offset0:24 offset1:222
	ds_read2_b32 v[15:16], v19 offset0:36 offset1:234
	ds_read2_b32 v[17:18], v21 offset0:48 offset1:246
	s_waitcnt lgkmcnt(0)
	s_barrier
	ds_write2_b32 v31, v23, v30 offset1:66
	ds_write_b32 v31, v7 offset:528
	ds_write2_b32 v27, v37, v35 offset1:66
	ds_write_b32 v27, v8 offset:528
	;; [unrolled: 2-line block ×3, first 2 shown]
	s_and_saveexec_b64 s[2:3], vcc
	s_cbranch_execz .LBB0_31
; %bb.30:
	v_add_f32_e32 v8, v32, v33
	v_add_f32_e32 v7, v20, v32
	v_fmac_f32_e32 v20, -0.5, v8
	v_sub_f32_e32 v8, v25, v26
	v_mov_b32_e32 v23, v20
	v_add_f32_e32 v7, v7, v33
	v_fmac_f32_e32 v23, 0xbf5db3d7, v8
	v_fmac_f32_e32 v20, 0x3f5db3d7, v8
	v_add_u32_e32 v8, 0x1a00, v22
	ds_write2_b32 v8, v7, v23 offset0:118 offset1:184
	ds_write_b32 v22, v20 offset:7656
.LBB0_31:
	s_or_b64 exec, exec, s[2:3]
	v_lshlrev_b32_e32 v7, 2, v2
	v_mov_b32_e32 v8, 0
	v_lshlrev_b64 v[22:23], 3, v[7:8]
	v_mov_b32_e32 v7, s9
	v_add_co_u32_e32 v26, vcc, s8, v22
	v_addc_co_u32_e32 v27, vcc, v7, v23, vcc
	s_waitcnt lgkmcnt(0)
	s_barrier
	global_load_dwordx4 v[22:25], v[26:27], off offset:1496
	global_load_dwordx4 v[30:33], v[26:27], off offset:1512
	ds_read2_b32 v[26:27], v3 offset0:12 offset1:210
	ds_read2_b32 v[34:35], v44 offset1:198
	ds_read2_b32 v[36:37], v5 offset0:24 offset1:222
	ds_read2_b32 v[38:39], v19 offset0:36 offset1:234
	;; [unrolled: 1-line block ×3, first 2 shown]
	s_waitcnt vmcnt(0) lgkmcnt(0)
	s_barrier
	v_mul_f32_e32 v7, v26, v23
	v_mul_f32_e32 v28, v36, v25
	;; [unrolled: 1-line block ×12, first 2 shown]
	v_fma_f32 v7, v11, v22, -v7
	v_fma_f32 v11, v13, v24, -v28
	v_fmac_f32_e32 v42, v36, v24
	v_fma_f32 v13, v15, v30, -v43
	v_fmac_f32_e32 v45, v38, v30
	v_fma_f32 v15, v17, v32, -v46
	v_mul_f32_e32 v47, v17, v33
	v_mul_f32_e32 v33, v18, v33
	v_fmac_f32_e32 v20, v26, v22
	v_fma_f32 v12, v12, v22, -v48
	v_fmac_f32_e32 v23, v27, v22
	v_fma_f32 v16, v16, v30, -v50
	;; [unrolled: 2-line block ×3, first 2 shown]
	v_add_f32_e32 v18, v9, v7
	v_add_f32_e32 v22, v11, v13
	;; [unrolled: 1-line block ×4, first 2 shown]
	v_fmac_f32_e32 v47, v40, v32
	v_fmac_f32_e32 v33, v41, v32
	v_sub_f32_e32 v27, v7, v11
	v_sub_f32_e32 v28, v15, v13
	;; [unrolled: 1-line block ×5, first 2 shown]
	v_add_f32_e32 v11, v18, v11
	v_fma_f32 v18, -0.5, v22, v9
	v_fma_f32 v9, -0.5, v30, v9
	;; [unrolled: 1-line block ×3, first 2 shown]
	v_mul_f32_e32 v49, v37, v25
	v_mul_f32_e32 v25, v14, v25
	v_sub_f32_e32 v7, v7, v15
	v_add_f32_e32 v22, v27, v28
	v_add_f32_e32 v27, v32, v36
	;; [unrolled: 1-line block ×3, first 2 shown]
	v_mov_b32_e32 v36, v30
	v_fma_f32 v14, v14, v24, -v49
	v_fmac_f32_e32 v25, v37, v24
	v_sub_f32_e32 v24, v20, v47
	v_sub_f32_e32 v40, v20, v42
	v_mov_b32_e32 v13, v18
	v_add_f32_e32 v11, v11, v15
	v_fmac_f32_e32 v36, 0xbf737871, v7
	v_sub_f32_e32 v15, v47, v45
	v_fmac_f32_e32 v30, 0x3f737871, v7
	v_sub_f32_e32 v26, v42, v45
	v_fmac_f32_e32 v18, 0xbf737871, v24
	v_fmac_f32_e32 v13, 0x3f737871, v24
	;; [unrolled: 1-line block ×3, first 2 shown]
	v_add_f32_e32 v15, v40, v15
	v_fmac_f32_e32 v30, 0x3f167918, v39
	v_mov_b32_e32 v32, v9
	v_fmac_f32_e32 v18, 0xbf167918, v26
	v_fmac_f32_e32 v13, 0x3f167918, v26
	;; [unrolled: 1-line block ×4, first 2 shown]
	v_add_f32_e32 v15, v20, v47
	v_fmac_f32_e32 v9, 0x3f737871, v26
	v_fmac_f32_e32 v32, 0xbf737871, v26
	;; [unrolled: 1-line block ×4, first 2 shown]
	v_fma_f32 v22, -0.5, v15, v34
	v_fmac_f32_e32 v9, 0xbf167918, v24
	v_fmac_f32_e32 v32, 0x3f167918, v24
	v_mov_b32_e32 v24, v22
	v_add_f32_e32 v37, v34, v20
	v_fmac_f32_e32 v24, 0x3f737871, v39
	v_sub_f32_e32 v15, v42, v20
	v_sub_f32_e32 v20, v45, v47
	v_fmac_f32_e32 v22, 0xbf737871, v39
	v_fmac_f32_e32 v24, 0xbf167918, v7
	v_add_f32_e32 v15, v15, v20
	v_fmac_f32_e32 v22, 0x3f167918, v7
	v_fmac_f32_e32 v24, 0x3e9e377a, v15
	;; [unrolled: 1-line block ×3, first 2 shown]
	v_add_f32_e32 v15, v14, v16
	v_fma_f32 v15, -0.5, v15, v10
	v_sub_f32_e32 v20, v23, v33
	v_mov_b32_e32 v26, v15
	v_add_f32_e32 v28, v37, v42
	v_fmac_f32_e32 v9, 0x3e9e377a, v27
	v_fmac_f32_e32 v32, 0x3e9e377a, v27
	;; [unrolled: 1-line block ×3, first 2 shown]
	v_sub_f32_e32 v27, v25, v31
	v_sub_f32_e32 v34, v12, v14
	v_sub_f32_e32 v37, v17, v16
	v_fmac_f32_e32 v15, 0xbf737871, v20
	v_fmac_f32_e32 v26, 0x3f167918, v27
	v_add_f32_e32 v34, v34, v37
	v_fmac_f32_e32 v15, 0xbf167918, v27
	v_fmac_f32_e32 v26, 0x3e9e377a, v34
	;; [unrolled: 1-line block ×3, first 2 shown]
	v_add_f32_e32 v34, v12, v17
	v_add_f32_e32 v7, v10, v12
	v_fmac_f32_e32 v10, -0.5, v34
	v_mov_b32_e32 v34, v10
	v_fmac_f32_e32 v34, 0xbf737871, v27
	v_sub_f32_e32 v37, v14, v12
	v_sub_f32_e32 v38, v16, v17
	v_fmac_f32_e32 v10, 0x3f737871, v27
	v_add_f32_e32 v27, v25, v31
	v_add_f32_e32 v7, v7, v14
	v_fmac_f32_e32 v34, 0x3f167918, v20
	v_add_f32_e32 v37, v37, v38
	v_fmac_f32_e32 v10, 0xbf167918, v20
	v_fma_f32 v27, -0.5, v27, v35
	v_add_f32_e32 v7, v7, v16
	v_fmac_f32_e32 v34, 0x3e9e377a, v37
	v_fmac_f32_e32 v10, 0x3e9e377a, v37
	v_sub_f32_e32 v12, v12, v17
	v_mov_b32_e32 v37, v27
	v_add_f32_e32 v7, v7, v17
	v_fmac_f32_e32 v37, 0xbf737871, v12
	v_sub_f32_e32 v14, v14, v16
	v_sub_f32_e32 v16, v23, v25
	;; [unrolled: 1-line block ×3, first 2 shown]
	v_fmac_f32_e32 v27, 0x3f737871, v12
	v_fmac_f32_e32 v37, 0xbf167918, v14
	v_add_f32_e32 v16, v16, v17
	v_fmac_f32_e32 v27, 0x3f167918, v14
	v_fmac_f32_e32 v37, 0x3e9e377a, v16
	;; [unrolled: 1-line block ×3, first 2 shown]
	v_add_f32_e32 v16, v23, v33
	v_add_f32_e32 v20, v35, v23
	v_fmac_f32_e32 v35, -0.5, v16
	v_mov_b32_e32 v38, v35
	v_fmac_f32_e32 v38, 0x3f737871, v14
	v_sub_f32_e32 v16, v25, v23
	v_sub_f32_e32 v17, v31, v33
	v_fmac_f32_e32 v35, 0xbf737871, v14
	v_fmac_f32_e32 v38, 0xbf167918, v12
	v_add_f32_e32 v16, v16, v17
	v_fmac_f32_e32 v35, 0x3f167918, v12
	v_fmac_f32_e32 v38, 0x3e9e377a, v16
	;; [unrolled: 1-line block ×3, first 2 shown]
	ds_write2_b32 v44, v11, v13 offset1:198
	ds_write2_b32 v3, v32, v9 offset0:12 offset1:210
	ds_write2_b32 v5, v18, v7 offset0:24 offset1:222
	;; [unrolled: 1-line block ×4, first 2 shown]
	s_waitcnt lgkmcnt(0)
	s_barrier
	ds_read2_b32 v[9:10], v44 offset1:198
	ds_read2_b32 v[13:14], v5 offset0:24 offset1:222
	ds_read2_b32 v[15:16], v19 offset0:36 offset1:234
	;; [unrolled: 1-line block ×4, first 2 shown]
	v_add_f32_e32 v28, v28, v45
	v_add_f32_e32 v20, v20, v25
	;; [unrolled: 1-line block ×5, first 2 shown]
	s_waitcnt lgkmcnt(0)
	s_barrier
	ds_write2_b32 v44, v28, v36 offset1:198
	ds_write2_b32 v3, v24, v22 offset0:12 offset1:210
	ds_write2_b32 v5, v30, v20 offset0:24 offset1:222
	;; [unrolled: 1-line block ×4, first 2 shown]
	s_waitcnt lgkmcnt(0)
	s_barrier
	s_and_saveexec_b64 s[2:3], s[0:1]
	s_cbranch_execz .LBB0_33
; %bb.32:
	v_mov_b32_e32 v5, v8
	v_lshlrev_b64 v[19:20], 3, v[4:5]
	v_mov_b32_e32 v5, s9
	v_add_co_u32_e32 v3, vcc, s8, v19
	v_addc_co_u32_e32 v7, vcc, v5, v20, vcc
	v_add_co_u32_e32 v19, vcc, 0x1000, v3
	v_addc_co_u32_e32 v20, vcc, 0, v7, vcc
	v_mov_b32_e32 v7, v8
	v_lshlrev_b64 v[21:22], 3, v[6:7]
	v_mov_b32_e32 v3, v8
	v_add_co_u32_e32 v7, vcc, s8, v21
	v_lshlrev_b64 v[2:3], 3, v[2:3]
	v_addc_co_u32_e32 v28, vcc, v5, v22, vcc
	v_add_co_u32_e32 v25, vcc, s8, v2
	v_addc_co_u32_e32 v5, vcc, v5, v3, vcc
	s_movk_i32 s1, 0x2000
	v_add_co_u32_e32 v21, vcc, s1, v25
	s_movk_i32 s0, 0x1000
	v_addc_co_u32_e32 v22, vcc, 0, v5, vcc
	v_add_co_u32_e32 v25, vcc, s0, v25
	v_addc_co_u32_e32 v26, vcc, 0, v5, vcc
	v_add_co_u32_e32 v27, vcc, s0, v7
	global_load_dwordx2 v[19:20], v[19:20], off offset:3736
	v_addc_co_u32_e32 v28, vcc, 0, v28, vcc
	global_load_dwordx2 v[23:24], v[21:22], off offset:2808
	v_add_u32_e32 v38, 0x600, v44
	global_load_dwordx2 v[25:26], v[25:26], off offset:3736
	s_nop 0
	global_load_dwordx2 v[30:31], v[27:28], off offset:3736
	global_load_dwordx2 v[32:33], v[21:22], off offset:1224
	v_add_u32_e32 v27, 0x1200, v44
	v_add_u32_e32 v5, 0xc00, v44
	;; [unrolled: 1-line block ×3, first 2 shown]
	ds_read2_b32 v[21:22], v44 offset1:198
	ds_read2_b32 v[27:28], v27 offset0:36 offset1:234
	ds_read2_b32 v[34:35], v5 offset0:24 offset1:222
	ds_read2_b32 v[36:37], v7 offset0:48 offset1:246
	ds_read2_b32 v[38:39], v38 offset0:12 offset1:210
	s_mov_b32 s2, 0x21195767
	s_movk_i32 s3, 0x3de
	s_waitcnt vmcnt(4)
	v_mul_f32_e32 v40, v18, v20
	s_waitcnt lgkmcnt(1)
	v_mul_f32_e32 v20, v37, v20
	v_fma_f32 v18, v18, v19, -v20
	s_waitcnt vmcnt(3)
	v_mul_f32_e32 v5, v16, v24
	v_mul_f32_e32 v7, v28, v24
	s_waitcnt vmcnt(2)
	v_mul_f32_e32 v24, v14, v26
	v_mul_f32_e32 v26, v35, v26
	;; [unrolled: 3-line block ×3, first 2 shown]
	v_fmac_f32_e32 v5, v28, v23
	v_fma_f32 v7, v16, v23, -v7
	s_waitcnt vmcnt(0)
	v_mul_f32_e32 v23, v27, v33
	v_mul_f32_e32 v28, v15, v33
	v_fmac_f32_e32 v24, v35, v25
	v_fma_f32 v35, v14, v25, -v26
	v_fma_f32 v20, v17, v30, -v31
	s_waitcnt lgkmcnt(0)
	v_sub_f32_e32 v17, v38, v5
	v_fma_f32 v5, v15, v32, -v23
	v_sub_f32_e32 v18, v13, v18
	v_fmac_f32_e32 v28, v27, v32
	v_sub_f32_e32 v23, v12, v20
	v_sub_f32_e32 v27, v10, v5
	v_fma_f32 v20, v13, 2.0, -v18
	v_sub_f32_e32 v13, v9, v35
	v_fma_f32 v32, v10, 2.0, -v27
	v_fma_f32 v10, v9, 2.0, -v13
	v_mov_b32_e32 v5, s13
	v_add_co_u32_e32 v9, vcc, s12, v0
	v_addc_co_u32_e32 v5, vcc, v5, v1, vcc
	v_add_co_u32_e32 v0, vcc, v9, v2
	v_addc_co_u32_e32 v1, vcc, v5, v3, vcc
	v_sub_f32_e32 v16, v11, v7
	v_sub_f32_e32 v14, v21, v24
	v_add_co_u32_e32 v2, vcc, s0, v0
	v_mul_hi_u32 v7, v29, s2
	v_fma_f32 v25, v11, 2.0, -v16
	v_sub_f32_e32 v28, v22, v28
	v_fma_f32 v11, v21, 2.0, -v14
	v_addc_co_u32_e32 v3, vcc, 0, v1, vcc
	v_fma_f32 v33, v22, 2.0, -v28
	global_store_dwordx2 v[0:1], v[10:11], off
	global_store_dwordx2 v[2:3], v[13:14], off offset:3824
	global_store_dwordx2 v[0:1], v[32:33], off offset:1584
	v_add_co_u32_e32 v2, vcc, s1, v0
	v_addc_co_u32_e32 v3, vcc, 0, v1, vcc
	global_store_dwordx2 v[2:3], v[27:28], off offset:1312
	v_lshrrev_b32_e32 v2, 7, v7
	v_mul_u32_u24_e32 v7, 0x3de, v2
	v_lshlrev_b64 v[2:3], 3, v[7:8]
	v_fma_f32 v26, v38, 2.0, -v17
	v_add_co_u32_e32 v0, vcc, v0, v2
	v_mul_hi_u32 v2, v6, s2
	v_addc_co_u32_e32 v1, vcc, v1, v3, vcc
	global_store_dwordx2 v[0:1], v[25:26], off offset:3168
	v_add_co_u32_e32 v0, vcc, s1, v0
	v_addc_co_u32_e32 v1, vcc, 0, v1, vcc
	global_store_dwordx2 v[0:1], v[16:17], off offset:2896
	v_lshrrev_b32_e32 v0, 7, v2
	v_mad_u32_u24 v7, v0, s3, v6
	v_lshlrev_b64 v[0:1], 3, v[7:8]
	v_fmac_f32_e32 v41, v36, v30
	v_sub_f32_e32 v24, v39, v41
	v_add_co_u32_e32 v0, vcc, v9, v0
	v_mul_hi_u32 v2, v4, s2
	v_fma_f32 v31, v39, 2.0, -v24
	v_fma_f32 v30, v12, 2.0, -v23
	v_addc_co_u32_e32 v1, vcc, v5, v1, vcc
	global_store_dwordx2 v[0:1], v[30:31], off
	v_add_co_u32_e32 v0, vcc, s0, v0
	v_addc_co_u32_e32 v1, vcc, 0, v1, vcc
	global_store_dwordx2 v[0:1], v[23:24], off offset:3824
	v_lshrrev_b32_e32 v0, 7, v2
	v_mad_u32_u24 v7, v0, s3, v4
	v_lshlrev_b64 v[0:1], 3, v[7:8]
	v_fmac_f32_e32 v40, v37, v19
	v_sub_f32_e32 v19, v34, v40
	v_add_co_u32_e32 v0, vcc, v9, v0
	v_fma_f32 v21, v34, 2.0, -v19
	v_addc_co_u32_e32 v1, vcc, v5, v1, vcc
	global_store_dwordx2 v[0:1], v[20:21], off
	v_add_co_u32_e32 v0, vcc, 0x1000, v0
	v_addc_co_u32_e32 v1, vcc, 0, v1, vcc
	global_store_dwordx2 v[0:1], v[18:19], off offset:3824
.LBB0_33:
	s_endpgm
	.section	.rodata,"a",@progbits
	.p2align	6, 0x0
	.amdhsa_kernel fft_rtc_fwd_len1980_factors_11_2_3_3_5_2_wgs_198_tpt_198_halfLds_sp_ip_CI_unitstride_sbrr_dirReg
		.amdhsa_group_segment_fixed_size 0
		.amdhsa_private_segment_fixed_size 0
		.amdhsa_kernarg_size 88
		.amdhsa_user_sgpr_count 6
		.amdhsa_user_sgpr_private_segment_buffer 1
		.amdhsa_user_sgpr_dispatch_ptr 0
		.amdhsa_user_sgpr_queue_ptr 0
		.amdhsa_user_sgpr_kernarg_segment_ptr 1
		.amdhsa_user_sgpr_dispatch_id 0
		.amdhsa_user_sgpr_flat_scratch_init 0
		.amdhsa_user_sgpr_private_segment_size 0
		.amdhsa_uses_dynamic_stack 0
		.amdhsa_system_sgpr_private_segment_wavefront_offset 0
		.amdhsa_system_sgpr_workgroup_id_x 1
		.amdhsa_system_sgpr_workgroup_id_y 0
		.amdhsa_system_sgpr_workgroup_id_z 0
		.amdhsa_system_sgpr_workgroup_info 0
		.amdhsa_system_vgpr_workitem_id 0
		.amdhsa_next_free_vgpr 63
		.amdhsa_next_free_sgpr 22
		.amdhsa_reserve_vcc 1
		.amdhsa_reserve_flat_scratch 0
		.amdhsa_float_round_mode_32 0
		.amdhsa_float_round_mode_16_64 0
		.amdhsa_float_denorm_mode_32 3
		.amdhsa_float_denorm_mode_16_64 3
		.amdhsa_dx10_clamp 1
		.amdhsa_ieee_mode 1
		.amdhsa_fp16_overflow 0
		.amdhsa_exception_fp_ieee_invalid_op 0
		.amdhsa_exception_fp_denorm_src 0
		.amdhsa_exception_fp_ieee_div_zero 0
		.amdhsa_exception_fp_ieee_overflow 0
		.amdhsa_exception_fp_ieee_underflow 0
		.amdhsa_exception_fp_ieee_inexact 0
		.amdhsa_exception_int_div_zero 0
	.end_amdhsa_kernel
	.text
.Lfunc_end0:
	.size	fft_rtc_fwd_len1980_factors_11_2_3_3_5_2_wgs_198_tpt_198_halfLds_sp_ip_CI_unitstride_sbrr_dirReg, .Lfunc_end0-fft_rtc_fwd_len1980_factors_11_2_3_3_5_2_wgs_198_tpt_198_halfLds_sp_ip_CI_unitstride_sbrr_dirReg
                                        ; -- End function
	.section	.AMDGPU.csdata,"",@progbits
; Kernel info:
; codeLenInByte = 8428
; NumSgprs: 26
; NumVgprs: 63
; ScratchSize: 0
; MemoryBound: 0
; FloatMode: 240
; IeeeMode: 1
; LDSByteSize: 0 bytes/workgroup (compile time only)
; SGPRBlocks: 3
; VGPRBlocks: 15
; NumSGPRsForWavesPerEU: 26
; NumVGPRsForWavesPerEU: 63
; Occupancy: 4
; WaveLimiterHint : 1
; COMPUTE_PGM_RSRC2:SCRATCH_EN: 0
; COMPUTE_PGM_RSRC2:USER_SGPR: 6
; COMPUTE_PGM_RSRC2:TRAP_HANDLER: 0
; COMPUTE_PGM_RSRC2:TGID_X_EN: 1
; COMPUTE_PGM_RSRC2:TGID_Y_EN: 0
; COMPUTE_PGM_RSRC2:TGID_Z_EN: 0
; COMPUTE_PGM_RSRC2:TIDIG_COMP_CNT: 0
	.type	__hip_cuid_2ea0aad67b5dfb40,@object ; @__hip_cuid_2ea0aad67b5dfb40
	.section	.bss,"aw",@nobits
	.globl	__hip_cuid_2ea0aad67b5dfb40
__hip_cuid_2ea0aad67b5dfb40:
	.byte	0                               ; 0x0
	.size	__hip_cuid_2ea0aad67b5dfb40, 1

	.ident	"AMD clang version 19.0.0git (https://github.com/RadeonOpenCompute/llvm-project roc-6.4.0 25133 c7fe45cf4b819c5991fe208aaa96edf142730f1d)"
	.section	".note.GNU-stack","",@progbits
	.addrsig
	.addrsig_sym __hip_cuid_2ea0aad67b5dfb40
	.amdgpu_metadata
---
amdhsa.kernels:
  - .args:
      - .actual_access:  read_only
        .address_space:  global
        .offset:         0
        .size:           8
        .value_kind:     global_buffer
      - .offset:         8
        .size:           8
        .value_kind:     by_value
      - .actual_access:  read_only
        .address_space:  global
        .offset:         16
        .size:           8
        .value_kind:     global_buffer
      - .actual_access:  read_only
        .address_space:  global
        .offset:         24
        .size:           8
        .value_kind:     global_buffer
      - .offset:         32
        .size:           8
        .value_kind:     by_value
      - .actual_access:  read_only
        .address_space:  global
        .offset:         40
        .size:           8
        .value_kind:     global_buffer
      - .actual_access:  read_only
        .address_space:  global
        .offset:         48
        .size:           8
        .value_kind:     global_buffer
      - .offset:         56
        .size:           4
        .value_kind:     by_value
      - .actual_access:  read_only
        .address_space:  global
        .offset:         64
        .size:           8
        .value_kind:     global_buffer
      - .actual_access:  read_only
        .address_space:  global
        .offset:         72
        .size:           8
        .value_kind:     global_buffer
      - .address_space:  global
        .offset:         80
        .size:           8
        .value_kind:     global_buffer
    .group_segment_fixed_size: 0
    .kernarg_segment_align: 8
    .kernarg_segment_size: 88
    .language:       OpenCL C
    .language_version:
      - 2
      - 0
    .max_flat_workgroup_size: 198
    .name:           fft_rtc_fwd_len1980_factors_11_2_3_3_5_2_wgs_198_tpt_198_halfLds_sp_ip_CI_unitstride_sbrr_dirReg
    .private_segment_fixed_size: 0
    .sgpr_count:     26
    .sgpr_spill_count: 0
    .symbol:         fft_rtc_fwd_len1980_factors_11_2_3_3_5_2_wgs_198_tpt_198_halfLds_sp_ip_CI_unitstride_sbrr_dirReg.kd
    .uniform_work_group_size: 1
    .uses_dynamic_stack: false
    .vgpr_count:     63
    .vgpr_spill_count: 0
    .wavefront_size: 64
amdhsa.target:   amdgcn-amd-amdhsa--gfx906
amdhsa.version:
  - 1
  - 2
...

	.end_amdgpu_metadata
